;; amdgpu-corpus repo=ROCm/rocFFT kind=compiled arch=gfx1030 opt=O3
	.text
	.amdgcn_target "amdgcn-amd-amdhsa--gfx1030"
	.amdhsa_code_object_version 6
	.protected	fft_rtc_back_len243_factors_9_3_9_wgs_189_tpt_27_dim1_dp_ip_CI_sbrr_dirReg ; -- Begin function fft_rtc_back_len243_factors_9_3_9_wgs_189_tpt_27_dim1_dp_ip_CI_sbrr_dirReg
	.globl	fft_rtc_back_len243_factors_9_3_9_wgs_189_tpt_27_dim1_dp_ip_CI_sbrr_dirReg
	.p2align	8
	.type	fft_rtc_back_len243_factors_9_3_9_wgs_189_tpt_27_dim1_dp_ip_CI_sbrr_dirReg,@function
fft_rtc_back_len243_factors_9_3_9_wgs_189_tpt_27_dim1_dp_ip_CI_sbrr_dirReg: ; @fft_rtc_back_len243_factors_9_3_9_wgs_189_tpt_27_dim1_dp_ip_CI_sbrr_dirReg
; %bb.0:
	s_clause 0x1
	s_load_dwordx4 s[12:15], s[4:5], 0x10
	s_load_dwordx2 s[22:23], s[4:5], 0x0
	v_mul_u32_u24_e32 v1, 0x97c, v0
	s_load_dwordx2 s[2:3], s[4:5], 0x48
                                        ; implicit-def: $sgpr4
	v_lshrrev_b32_e32 v3, 16, v1
	v_mad_u64_u32 v[36:37], null, s6, 7, v[3:4]
	v_mul_lo_u16 v3, v3, 27
	v_mov_b32_e32 v37, 0
	v_sub_nc_u16 v3, v0, v3
	s_waitcnt lgkmcnt(0)
	s_load_dwordx4 s[8:11], s[12:13], 0x0
	v_cmp_gt_u64_e32 vcc_lo, s[14:15], v[36:37]
	v_cmp_le_u64_e64 s0, s[14:15], v[36:37]
	v_and_b32_e32 v39, 0xffff, v3
	v_add_nc_u32_e32 v38, 27, v39
	v_add_nc_u32_e32 v37, 54, v39
	s_waitcnt lgkmcnt(0)
	v_mad_u64_u32 v[1:2], null, s10, v36, 0
	v_mov_b32_e32 v0, v2
	v_mad_u64_u32 v[2:3], null, s11, v36, v[0:1]
	s_and_saveexec_b32 s1, s0
	s_xor_b32 s0, exec_lo, s1
; %bb.1:
	v_add_nc_u32_e32 v38, 27, v39
	v_add_nc_u32_e32 v37, 54, v39
	s_mov_b32 s4, 0
; %bb.2:
	s_or_saveexec_b32 s1, s0
	v_lshlrev_b64 v[40:41], 4, v[1:2]
	v_mov_b32_e32 v42, s4
                                        ; implicit-def: $vgpr34_vgpr35
                                        ; implicit-def: $vgpr30_vgpr31
                                        ; implicit-def: $vgpr22_vgpr23
                                        ; implicit-def: $vgpr6_vgpr7
                                        ; implicit-def: $vgpr10_vgpr11
                                        ; implicit-def: $vgpr18_vgpr19
                                        ; implicit-def: $vgpr26_vgpr27
                                        ; implicit-def: $vgpr14_vgpr15
                                        ; implicit-def: $vgpr2_vgpr3
	s_xor_b32 exec_lo, exec_lo, s1
	s_cbranch_execz .LBB0_4
; %bb.3:
	v_mad_u64_u32 v[0:1], null, s8, v39, 0
	v_mad_u64_u32 v[2:3], null, s8, v38, 0
	;; [unrolled: 1-line block ×3, first 2 shown]
	v_add_nc_u32_e32 v10, 0x51, v39
	v_add_co_u32 v32, s0, s2, v40
	v_add_co_ci_u32_e64 v33, s0, s3, v41, s0
	v_mad_u64_u32 v[6:7], null, s9, v39, v[1:2]
	v_mad_u64_u32 v[7:8], null, s9, v38, v[3:4]
	v_mov_b32_e32 v3, v5
	v_mad_u64_u32 v[8:9], null, s8, v10, 0
	v_add_nc_u32_e32 v11, 0x6c, v39
	v_mov_b32_e32 v1, v6
	v_mad_u64_u32 v[5:6], null, s9, v37, v[3:4]
	v_mov_b32_e32 v3, v7
	v_mad_u64_u32 v[20:21], null, s8, v11, 0
	v_lshlrev_b64 v[0:1], 4, v[0:1]
	v_mov_b32_e32 v6, v9
	v_lshlrev_b64 v[2:3], 4, v[2:3]
	v_add_nc_u32_e32 v16, 0x87, v39
	v_add_nc_u32_e32 v17, 0xa2, v39
	v_lshlrev_b64 v[4:5], 4, v[4:5]
	v_add_co_u32 v0, s0, v32, v0
	v_mad_u64_u32 v[6:7], null, s9, v10, v[6:7]
	v_add_co_ci_u32_e64 v1, s0, v33, v1, s0
	v_add_co_u32 v9, s0, v32, v2
	v_add_co_ci_u32_e64 v10, s0, v33, v3, s0
	s_clause 0x1
	global_load_dwordx4 v[0:3], v[0:1], off
	global_load_dwordx4 v[12:15], v[9:10], off
	v_mov_b32_e32 v9, v6
	v_mov_b32_e32 v6, v21
	v_mad_u64_u32 v[22:23], null, s8, v17, 0
	v_add_co_u32 v4, s0, v32, v4
	v_lshlrev_b64 v[7:8], 4, v[8:9]
	v_add_nc_u32_e32 v34, 0xbd, v39
	v_add_co_ci_u32_e64 v5, s0, v33, v5, s0
	v_add_nc_u32_e32 v35, 0xd8, v39
	v_mov_b32_e32 v42, v39
	v_mad_u64_u32 v[9:10], null, s9, v11, v[6:7]
	v_mad_u64_u32 v[10:11], null, s8, v16, 0
	v_add_co_u32 v6, s0, v32, v7
	v_add_co_ci_u32_e64 v7, s0, v33, v8, s0
	v_mov_b32_e32 v21, v9
	v_mov_b32_e32 v9, v23
	;; [unrolled: 1-line block ×3, first 2 shown]
	v_mad_u64_u32 v[28:29], null, s8, v34, 0
	v_mad_u64_u32 v[30:31], null, s8, v35, 0
	;; [unrolled: 1-line block ×4, first 2 shown]
	s_clause 0x1
	global_load_dwordx4 v[24:27], v[4:5], off
	global_load_dwordx4 v[16:19], v[6:7], off
	v_lshlrev_b64 v[5:6], 4, v[20:21]
	v_mov_b32_e32 v4, v29
	v_mov_b32_e32 v11, v23
	;; [unrolled: 1-line block ×3, first 2 shown]
	v_mad_u64_u32 v[7:8], null, s9, v34, v[4:5]
	v_mov_b32_e32 v4, v31
	v_add_co_u32 v5, s0, v32, v5
	v_lshlrev_b64 v[8:9], 4, v[10:11]
	v_lshlrev_b64 v[20:21], 4, v[22:23]
	v_add_co_ci_u32_e64 v6, s0, v33, v6, s0
	v_mad_u64_u32 v[10:11], null, s9, v35, v[4:5]
	v_mov_b32_e32 v29, v7
	v_add_co_u32 v22, s0, v32, v8
	v_add_co_ci_u32_e64 v23, s0, v33, v9, s0
	v_lshlrev_b64 v[7:8], 4, v[28:29]
	v_mov_b32_e32 v31, v10
	v_add_co_u32 v20, s0, v32, v20
	v_add_co_ci_u32_e64 v21, s0, v33, v21, s0
	v_lshlrev_b64 v[9:10], 4, v[30:31]
	v_add_co_u32 v28, s0, v32, v7
	v_add_co_ci_u32_e64 v29, s0, v33, v8, s0
	v_add_co_u32 v32, s0, v32, v9
	v_add_co_ci_u32_e64 v33, s0, v33, v10, s0
	s_clause 0x4
	global_load_dwordx4 v[8:11], v[5:6], off
	global_load_dwordx4 v[4:7], v[22:23], off
	;; [unrolled: 1-line block ×5, first 2 shown]
.LBB0_4:
	s_or_b32 exec_lo, exec_lo, s1
	s_waitcnt vmcnt(0)
	v_add_f64 v[43:44], v[32:33], v[12:13]
	v_add_f64 v[12:13], v[12:13], -v[32:33]
	v_add_f64 v[32:33], v[8:9], -v[4:5]
	v_add_f64 v[45:46], v[34:35], v[14:15]
	v_add_f64 v[14:15], v[14:15], -v[34:35]
	v_add_f64 v[34:35], v[10:11], -v[6:7]
	v_add_f64 v[47:48], v[4:5], v[8:9]
	v_add_f64 v[49:50], v[28:29], v[24:25]
	;; [unrolled: 1-line block ×4, first 2 shown]
	s_mov_b32 s10, 0x523c161c
	s_mov_b32 s11, 0x3fe491b7
	;; [unrolled: 1-line block ×4, first 2 shown]
	v_add_f64 v[26:27], v[26:27], -v[30:31]
	s_mov_b32 s12, 0xa2cf5039
	s_mov_b32 s14, 0x8c811c17
	;; [unrolled: 1-line block ×4, first 2 shown]
	v_add_f64 v[53:54], v[20:21], v[16:17]
	v_add_f64 v[24:25], v[24:25], -v[28:29]
	v_add_f64 v[16:17], v[16:17], -v[20:21]
	v_fma_f64 v[20:21], v[43:44], s[12:13], v[0:1]
	v_mul_f64 v[28:29], v[12:13], s[10:11]
	v_mul_f64 v[30:31], v[32:33], s[6:7]
	;; [unrolled: 1-line block ×5, first 2 shown]
	v_fma_f64 v[63:64], v[47:48], s[12:13], v[0:1]
	v_mul_f64 v[67:68], v[34:35], s[14:15]
	v_fma_f64 v[69:70], v[49:50], s[12:13], v[0:1]
	v_fma_f64 v[73:74], v[51:52], s[12:13], v[2:3]
	;; [unrolled: 1-line block ×4, first 2 shown]
	v_add_f64 v[55:56], v[22:23], v[18:19]
	v_add_f64 v[18:19], v[18:19], -v[22:23]
	v_add_f64 v[22:23], v[49:50], v[43:44]
	v_add_f64 v[77:78], v[51:52], v[45:46]
	s_mov_b32 s18, 0x7e0b738b
	s_mov_b32 s19, 0x3fc63a1a
	;; [unrolled: 1-line block ×6, first 2 shown]
	v_fma_f64 v[20:21], v[49:50], s[18:19], v[20:21]
	v_fma_f64 v[28:29], v[24:25], s[14:15], v[28:29]
	;; [unrolled: 1-line block ×3, first 2 shown]
	v_fma_f64 v[65:66], v[24:25], s[6:7], -v[65:66]
	v_fma_f64 v[59:60], v[26:27], s[14:15], v[59:60]
	v_fma_f64 v[61:62], v[14:15], s[14:15], v[61:62]
	;; [unrolled: 1-line block ×3, first 2 shown]
	v_fma_f64 v[67:68], v[26:27], s[6:7], -v[67:68]
	v_fma_f64 v[69:70], v[47:48], s[18:19], v[69:70]
	v_fma_f64 v[73:74], v[57:58], s[18:19], v[73:74]
	v_fma_f64 v[71:72], v[51:52], s[18:19], v[71:72]
	v_fma_f64 v[75:76], v[45:46], s[18:19], v[75:76]
	v_add_f64 v[79:80], v[53:54], v[0:1]
	v_add_f64 v[83:84], v[32:33], v[12:13]
	;; [unrolled: 1-line block ×8, first 2 shown]
	s_mov_b32 s20, 0x748a0bf8
	s_mov_b32 s21, 0x3fd5e3a8
	v_fma_f64 v[20:21], v[53:54], -0.5, v[20:21]
	v_fma_f64 v[28:29], v[16:17], s[0:1], v[28:29]
	v_fma_f64 v[30:31], v[16:17], s[4:5], v[30:31]
	;; [unrolled: 1-line block ×5, first 2 shown]
	v_fma_f64 v[63:64], v[53:54], -0.5, v[63:64]
	v_fma_f64 v[18:19], v[18:19], s[0:1], v[67:68]
	v_fma_f64 v[53:54], v[53:54], -0.5, v[69:70]
	v_fma_f64 v[67:68], v[55:56], -0.5, v[73:74]
	;; [unrolled: 1-line block ×4, first 2 shown]
	v_mul_hi_u32 v91, 0x24924925, v36
	v_add_f64 v[69:70], v[83:84], -v[24:25]
	v_add_f64 v[71:72], v[8:9], v[85:86]
	v_add_f64 v[10:11], v[10:11], v[87:88]
	v_fma_f64 v[8:9], v[22:23], -0.5, v[79:80]
	s_mov_b32 s16, 0x42522d1b
	s_mov_b32 s17, 0xbfee11f6
	v_fma_f64 v[22:23], v[77:78], -0.5, v[81:82]
	v_sub_nc_u32_e32 v73, v36, v91
	s_mov_b32 s24, 0xe8584caa
	v_fma_f64 v[20:21], v[47:48], s[16:17], v[20:21]
	v_fma_f64 v[47:48], v[32:33], s[20:21], v[28:29]
	;; [unrolled: 1-line block ×3, first 2 shown]
	v_add_f64 v[24:25], v[89:90], -v[26:27]
	v_fma_f64 v[28:29], v[34:35], s[20:21], v[59:60]
	v_fma_f64 v[34:35], v[12:13], s[20:21], v[16:17]
	;; [unrolled: 1-line block ×9, first 2 shown]
	v_lshrrev_b32_e32 v73, 1, v73
	v_mul_f64 v[51:52], v[69:70], s[0:1]
	v_add_f64 v[55:56], v[6:7], v[10:11]
	s_mov_b32 s25, s5
	s_mov_b32 s26, s24
	v_add_nc_u32_e32 v12, v73, v91
	v_fma_f64 v[10:11], v[69:70], s[0:1], v[22:23]
	s_mov_b32 s27, s1
	v_lshrrev_b32_e32 v12, 2, v12
	v_mul_f64 v[53:54], v[24:25], s[0:1]
	v_fma_f64 v[8:9], v[24:25], s[4:5], v[8:9]
	v_add_f64 v[24:25], v[4:5], v[71:72]
	v_mul_lo_u32 v57, v12, 7
	v_add_f64 v[4:5], v[20:21], -v[28:29]
	v_add_f64 v[16:17], v[14:15], -v[49:50]
	v_add_f64 v[18:19], v[34:35], v[18:19]
	v_add_f64 v[12:13], v[32:33], -v[26:27]
	v_add_f64 v[14:15], v[30:31], v[43:44]
	v_add_f64 v[6:7], v[47:48], v[45:46]
	v_and_b32_e32 v20, 0xff, v39
	v_sub_nc_u32_e32 v21, v36, v57
	v_add_f64 v[2:3], v[2:3], v[55:56]
	v_and_b32_e32 v36, 0xff, v38
	v_mov_b32_e32 v44, 5
	v_mul_lo_u16 v20, v20, 57
	v_mul_u32_u24_e32 v21, 0xf3, v21
	v_fma_f64 v[22:23], v[51:52], -2.0, v[10:11]
	v_mul_lo_u16 v36, v36, 57
	v_and_b32_e32 v45, 0xff, v37
	v_lshrrev_b16 v76, 9, v20
	v_lshlrev_b32_e32 v77, 4, v21
	v_fma_f64 v[20:21], v[53:54], 2.0, v[8:9]
	v_add_f64 v[0:1], v[0:1], v[24:25]
	v_mul_lo_u16 v43, v76, 9
	v_fma_f64 v[24:25], v[28:29], 2.0, v[4:5]
	v_fma_f64 v[32:33], v[49:50], 2.0, v[16:17]
	v_fma_f64 v[34:35], v[34:35], -2.0, v[18:19]
	v_fma_f64 v[28:29], v[26:27], 2.0, v[12:13]
	v_fma_f64 v[30:31], v[30:31], -2.0, v[14:15]
	v_fma_f64 v[26:27], v[47:48], -2.0, v[6:7]
	v_add_nc_u32_e32 v78, 0, v77
	v_sub_nc_u16 v79, v39, v43
	v_lshrrev_b16 v80, 9, v36
	v_mul_lo_u16 v45, v45, 57
	v_mad_u32_u24 v43, 0x90, v39, v78
	v_lshlrev_b32_sdwa v36, v44, v79 dst_sel:DWORD dst_unused:UNUSED_PAD src0_sel:DWORD src1_sel:BYTE_0
	ds_write_b128 v43, v[8:11] offset:48
	ds_write_b128 v43, v[0:3]
	ds_write_b128 v43, v[4:7] offset:16
	ds_write_b128 v43, v[12:15] offset:32
	ds_write_b128 v43, v[16:19] offset:64
	ds_write_b128 v43, v[20:23] offset:96
	ds_write_b128 v43, v[32:35] offset:80
	ds_write_b128 v43, v[28:31] offset:112
	ds_write_b128 v43, v[24:27] offset:128
	s_waitcnt lgkmcnt(0)
	s_barrier
	buffer_gl0_inv
	global_load_dwordx4 v[1:4], v36, s[22:23]
	v_lshrrev_b16 v81, 9, v45
	v_mul_lo_u16 v0, v80, 9
	v_lshl_add_u32 v45, v38, 4, v78
	v_mul_lo_u16 v5, v81, 9
	v_sub_nc_u16 v82, v38, v0
	v_sub_nc_u16 v83, v37, v5
	global_load_dwordx4 v[5:8], v36, s[22:23] offset:16
	v_lshlrev_b32_sdwa v0, v44, v82 dst_sel:DWORD dst_unused:UNUSED_PAD src0_sel:DWORD src1_sel:BYTE_0
	v_lshlrev_b32_sdwa v21, v44, v83 dst_sel:DWORD dst_unused:UNUSED_PAD src0_sel:DWORD src1_sel:BYTE_0
	s_clause 0x3
	global_load_dwordx4 v[9:12], v0, s[22:23]
	global_load_dwordx4 v[13:16], v0, s[22:23] offset:16
	global_load_dwordx4 v[17:20], v21, s[22:23]
	global_load_dwordx4 v[21:24], v21, s[22:23] offset:16
	v_lshlrev_b32_e32 v0, 7, v39
	v_sub_nc_u32_e32 v44, v43, v0
	v_lshl_add_u32 v43, v39, 4, v78
	ds_read_b128 v[25:28], v44 offset:1296
	ds_read_b128 v[29:32], v44 offset:2592
	;; [unrolled: 1-line block ×5, first 2 shown]
	ds_read_b128 v[54:57], v43
	ds_read_b128 v[58:61], v44 offset:3456
	ds_read_b128 v[62:65], v45
	s_waitcnt vmcnt(5) lgkmcnt(7)
	v_mul_f64 v[66:67], v[27:28], v[3:4]
	v_mul_f64 v[3:4], v[25:26], v[3:4]
	s_waitcnt vmcnt(4) lgkmcnt(6)
	v_mul_f64 v[38:39], v[31:32], v[7:8]
	v_mul_f64 v[7:8], v[29:30], v[7:8]
	;; [unrolled: 3-line block ×5, first 2 shown]
	s_waitcnt vmcnt(0) lgkmcnt(1)
	v_mul_f64 v[74:75], v[60:61], v[23:24]
	v_fma_f64 v[25:26], v[25:26], v[1:2], v[66:67]
	v_fma_f64 v[27:28], v[27:28], v[1:2], -v[3:4]
	v_mul_f64 v[1:2], v[58:59], v[23:24]
	v_fma_f64 v[23:24], v[29:30], v[5:6], v[38:39]
	v_fma_f64 v[5:6], v[31:32], v[5:6], -v[7:8]
	v_lshl_add_u32 v32, v37, 4, v78
	v_mov_b32_e32 v31, 4
	v_fma_f64 v[7:8], v[33:34], v[9:10], v[68:69]
	v_fma_f64 v[9:10], v[35:36], v[9:10], -v[11:12]
	v_fma_f64 v[29:30], v[46:47], v[13:14], v[70:71]
	v_fma_f64 v[11:12], v[48:49], v[13:14], -v[15:16]
	;; [unrolled: 2-line block ×3, first 2 shown]
	v_fma_f64 v[15:16], v[58:59], v[21:22], v[74:75]
	v_add_f64 v[50:51], v[54:55], v[25:26]
	v_add_f64 v[52:53], v[56:57], v[27:28]
	v_fma_f64 v[19:20], v[60:61], v[21:22], -v[1:2]
	ds_read_b128 v[1:4], v32
	v_and_b32_e32 v39, 0xffff, v76
	v_and_b32_e32 v70, 0xffff, v80
	;; [unrolled: 1-line block ×3, first 2 shown]
	s_waitcnt lgkmcnt(0)
	s_barrier
	v_mad_u32_u24 v39, 0x1b0, v39, 0
	buffer_gl0_inv
	v_add_f64 v[21:22], v[25:26], v[23:24]
	v_add_f64 v[33:34], v[27:28], v[5:6]
	v_add_f64 v[27:28], v[27:28], -v[5:6]
	v_add_f64 v[25:26], v[25:26], -v[23:24]
	v_add_f64 v[58:59], v[62:63], v[7:8]
	v_add_f64 v[60:61], v[64:65], v[9:10]
	;; [unrolled: 1-line block ×8, first 2 shown]
	v_fma_f64 v[21:22], v[21:22], -0.5, v[54:55]
	v_fma_f64 v[33:34], v[33:34], -0.5, v[56:57]
	v_add_f64 v[54:55], v[9:10], -v[11:12]
	v_add_f64 v[56:57], v[7:8], -v[29:30]
	v_add_f64 v[7:8], v[60:61], v[11:12]
	v_fma_f64 v[35:36], v[35:36], -0.5, v[62:63]
	v_fma_f64 v[37:38], v[37:38], -0.5, v[64:65]
	v_add_f64 v[62:63], v[17:18], -v[19:20]
	v_add_f64 v[64:65], v[13:14], -v[15:16]
	v_fma_f64 v[46:47], v[46:47], -0.5, v[1:2]
	v_add_f64 v[1:2], v[50:51], v[23:24]
	v_add_f64 v[9:10], v[66:67], v[15:16]
	v_fma_f64 v[48:49], v[48:49], -0.5, v[3:4]
	v_add_f64 v[3:4], v[52:53], v[5:6]
	v_add_f64 v[11:12], v[68:69], v[19:20]
	;; [unrolled: 1-line block ×3, first 2 shown]
	v_mad_u32_u24 v29, 0x1b0, v70, 0
	v_mad_u32_u24 v30, 0x1b0, v71, 0
	v_fma_f64 v[13:14], v[27:28], s[24:25], v[21:22]
	v_fma_f64 v[15:16], v[25:26], s[26:27], v[33:34]
	;; [unrolled: 1-line block ×10, first 2 shown]
	v_lshlrev_b32_sdwa v37, v31, v79 dst_sel:DWORD dst_unused:UNUSED_PAD src0_sel:DWORD src1_sel:BYTE_0
	v_fma_f64 v[35:36], v[64:65], s[26:27], v[48:49]
	v_fma_f64 v[48:49], v[64:65], s[24:25], v[48:49]
	v_lshlrev_b32_sdwa v38, v31, v82 dst_sel:DWORD dst_unused:UNUSED_PAD src0_sel:DWORD src1_sel:BYTE_0
	v_lshlrev_b32_sdwa v31, v31, v83 dst_sel:DWORD dst_unused:UNUSED_PAD src0_sel:DWORD src1_sel:BYTE_0
	v_add3_u32 v37, v39, v37, v77
	v_add3_u32 v29, v29, v38, v77
	;; [unrolled: 1-line block ×3, first 2 shown]
	ds_write_b128 v37, v[1:4]
	ds_write_b128 v37, v[13:16] offset:144
	ds_write_b128 v37, v[17:20] offset:288
	ds_write_b128 v29, v[5:8]
	ds_write_b128 v29, v[21:24] offset:144
	ds_write_b128 v29, v[25:28] offset:288
	ds_write_b128 v30, v[9:12]
	ds_write_b128 v30, v[33:36] offset:144
	ds_write_b128 v30, v[46:49] offset:288
	s_waitcnt lgkmcnt(0)
	s_barrier
	buffer_gl0_inv
	s_and_saveexec_b32 s24, vcc_lo
	s_cbranch_execz .LBB0_6
; %bb.5:
	s_clause 0x7
	global_load_dwordx4 v[28:31], v0, s[22:23] offset:336
	global_load_dwordx4 v[24:27], v0, s[22:23] offset:304
	;; [unrolled: 1-line block ×8, first 2 shown]
	ds_read_b128 v[46:49], v44 offset:1728
	ds_read_b128 v[36:39], v32
	ds_read_b128 v[32:35], v44 offset:3024
	ds_read_b128 v[50:53], v44 offset:2160
	;; [unrolled: 1-line block ×4, first 2 shown]
	ds_read_b128 v[62:65], v45
	ds_read_b128 v[66:69], v44 offset:3456
	v_add_nc_u32_e32 v78, 27, v42
	v_add_nc_u32_e32 v79, 54, v42
	v_add_co_u32 v93, vcc_lo, s2, v40
	v_add_co_ci_u32_e32 v94, vcc_lo, s3, v41, vcc_lo
	v_mad_u64_u32 v[40:41], null, s8, v78, 0
	v_add_nc_u32_e32 v80, 0x51, v42
	v_add_nc_u32_e32 v82, 0x87, v42
	;; [unrolled: 1-line block ×3, first 2 shown]
	v_mad_u64_u32 v[44:45], null, s8, v42, 0
	v_add_nc_u32_e32 v81, 0x6c, v42
	v_add_nc_u32_e32 v84, 0xbd, v42
	;; [unrolled: 1-line block ×3, first 2 shown]
	s_waitcnt vmcnt(7) lgkmcnt(7)
	v_mul_f64 v[70:71], v[30:31], v[48:49]
	s_waitcnt vmcnt(6) lgkmcnt(6)
	v_mul_f64 v[72:73], v[26:27], v[38:39]
	v_mul_f64 v[74:75], v[36:37], v[26:27]
	s_waitcnt vmcnt(5) lgkmcnt(5)
	v_mul_f64 v[76:77], v[22:23], v[34:35]
	v_mul_f64 v[22:23], v[32:33], v[22:23]
	;; [unrolled: 1-line block ×3, first 2 shown]
	v_fma_f64 v[46:47], v[28:29], v[46:47], v[70:71]
	v_fma_f64 v[36:37], v[24:25], v[36:37], v[72:73]
	v_fma_f64 v[24:25], v[24:25], v[38:39], -v[74:75]
	s_waitcnt vmcnt(3) lgkmcnt(1)
	v_mul_f64 v[38:39], v[14:15], v[64:65]
	v_mul_f64 v[14:15], v[62:63], v[14:15]
	s_waitcnt vmcnt(2) lgkmcnt(0)
	v_mul_f64 v[72:73], v[10:11], v[68:69]
	v_fma_f64 v[32:33], v[20:21], v[32:33], v[76:77]
	v_fma_f64 v[20:21], v[20:21], v[34:35], -v[22:23]
	v_mul_f64 v[10:11], v[66:67], v[10:11]
	s_waitcnt vmcnt(1)
	v_mul_f64 v[34:35], v[50:51], v[6:7]
	v_mul_f64 v[6:7], v[6:7], v[52:53]
	v_fma_f64 v[30:31], v[28:29], v[48:49], -v[30:31]
	v_mul_f64 v[48:49], v[18:19], v[56:57]
	v_mul_f64 v[18:19], v[54:55], v[18:19]
	v_mad_u64_u32 v[70:71], null, s8, v79, 0
	v_mad_u64_u32 v[22:23], null, s8, v80, 0
	ds_read_b128 v[26:29], v43
	v_mad_u64_u32 v[74:75], null, s8, v84, 0
	v_mov_b32_e32 v43, v45
	v_fma_f64 v[38:39], v[12:13], v[62:63], v[38:39]
	v_fma_f64 v[12:13], v[12:13], v[64:65], -v[14:15]
	s_waitcnt vmcnt(0)
	v_mul_f64 v[62:63], v[2:3], v[60:61]
	v_mul_f64 v[2:3], v[58:59], v[2:3]
	v_fma_f64 v[64:65], v[8:9], v[66:67], v[72:73]
	v_fma_f64 v[8:9], v[8:9], v[68:69], -v[10:11]
	v_mov_b32_e32 v10, v41
	v_fma_f64 v[6:7], v[4:5], v[50:51], v[6:7]
	v_fma_f64 v[4:5], v[4:5], v[52:53], -v[34:35]
	v_mov_b32_e32 v11, v71
	v_fma_f64 v[48:49], v[16:17], v[54:55], v[48:49]
	v_fma_f64 v[16:17], v[16:17], v[56:57], -v[18:19]
	v_mad_u64_u32 v[54:55], null, s8, v82, 0
	v_mad_u64_u32 v[50:51], null, s9, v78, v[10:11]
	;; [unrolled: 1-line block ×5, first 2 shown]
	v_mov_b32_e32 v34, v55
	v_mad_u64_u32 v[42:43], null, s9, v42, v[43:44]
	v_fma_f64 v[52:53], v[0:1], v[58:59], v[62:63]
	v_fma_f64 v[0:1], v[0:1], v[60:61], -v[2:3]
	v_add_f64 v[2:3], v[24:25], v[20:21]
	v_add_f64 v[58:59], v[12:13], v[8:9]
	;; [unrolled: 1-line block ×4, first 2 shown]
	v_add_f64 v[66:67], v[46:47], -v[6:7]
	v_add_f64 v[38:39], v[38:39], -v[64:65]
	v_add_f64 v[72:73], v[30:31], v[4:5]
	v_mov_b32_e32 v35, v57
	v_mad_u64_u32 v[14:15], null, s8, v85, 0
	v_mad_u64_u32 v[10:11], null, s9, v79, v[11:12]
	;; [unrolled: 1-line block ×4, first 2 shown]
	v_mov_b32_e32 v41, v75
	v_mad_u64_u32 v[34:35], null, s9, v83, v[35:36]
	v_mov_b32_e32 v45, v42
	v_mov_b32_e32 v71, v10
	v_mad_u64_u32 v[75:76], null, s9, v84, v[41:42]
	v_mad_u64_u32 v[76:77], null, s9, v85, v[15:16]
	v_mov_b32_e32 v41, v50
	v_mov_b32_e32 v23, v51
	v_add_f64 v[10:11], v[48:49], v[52:53]
	v_add_f64 v[42:43], v[16:17], v[0:1]
	v_add_f64 v[50:51], v[2:3], v[58:59]
	v_add_f64 v[77:78], v[46:47], v[6:7]
	v_add_f64 v[79:80], v[62:63], v[60:61]
	v_add_f64 v[32:33], v[36:37], -v[32:33]
	v_mul_f64 v[35:36], v[66:67], s[14:15]
	v_mul_f64 v[81:82], v[66:67], s[6:7]
	;; [unrolled: 1-line block ×3, first 2 shown]
	v_mov_b32_e32 v19, v68
	v_mov_b32_e32 v55, v64
	s_waitcnt lgkmcnt(0)
	v_fma_f64 v[64:65], v[2:3], s[12:13], v[28:29]
	v_fma_f64 v[68:69], v[72:73], s[12:13], v[28:29]
	;; [unrolled: 1-line block ×3, first 2 shown]
	v_mov_b32_e32 v57, v34
	v_add_f64 v[48:49], v[48:49], -v[52:53]
	v_add_f64 v[8:9], v[12:13], -v[8:9]
	;; [unrolled: 1-line block ×5, first 2 shown]
	v_lshlrev_b64 v[44:45], 4, v[44:45]
	v_mov_b32_e32 v15, v76
	v_add_f64 v[89:90], v[10:11], v[26:27]
	v_add_f64 v[52:53], v[42:43], v[28:29]
	;; [unrolled: 1-line block ×6, first 2 shown]
	v_fma_f64 v[34:35], v[32:33], s[6:7], -v[35:36]
	v_fma_f64 v[36:37], v[38:39], s[14:15], v[81:82]
	v_fma_f64 v[81:82], v[32:33], s[14:15], v[83:84]
	v_lshlrev_b64 v[40:41], 4, v[40:41]
	v_lshlrev_b64 v[70:71], 4, v[70:71]
	v_fma_f64 v[64:65], v[72:73], s[18:19], v[64:65]
	v_fma_f64 v[68:69], v[58:59], s[18:19], v[68:69]
	;; [unrolled: 1-line block ×3, first 2 shown]
	v_add_co_u32 v44, vcc_lo, v93, v44
	v_mul_f64 v[85:86], v[8:9], s[10:11]
	v_mul_f64 v[20:21], v[12:13], s[14:15]
	;; [unrolled: 1-line block ×3, first 2 shown]
	v_add_co_ci_u32_e32 v45, vcc_lo, v94, v45, vcc_lo
	v_lshlrev_b64 v[22:23], 4, v[22:23]
	v_add_co_u32 v40, vcc_lo, v93, v40
	v_fma_f64 v[52:53], v[87:88], -0.5, v[52:53]
	v_add_f64 v[30:31], v[30:31], v[50:51]
	v_fma_f64 v[87:88], v[91:92], -0.5, v[89:90]
	v_fma_f64 v[89:90], v[62:63], s[12:13], v[26:27]
	v_fma_f64 v[34:35], v[48:49], s[0:1], v[34:35]
	;; [unrolled: 1-line block ×5, first 2 shown]
	v_add_f64 v[46:47], v[46:47], v[79:80]
	v_fma_f64 v[64:65], v[42:43], -0.5, v[64:65]
	v_fma_f64 v[68:69], v[42:43], -0.5, v[68:69]
	;; [unrolled: 1-line block ×3, first 2 shown]
	v_fma_f64 v[83:84], v[60:61], s[12:13], v[26:27]
	v_add_co_ci_u32_e32 v41, vcc_lo, v94, v41, vcc_lo
	v_fma_f64 v[20:21], v[16:17], s[6:7], -v[20:21]
	v_fma_f64 v[24:25], v[8:9], s[14:15], v[24:25]
	v_fma_f64 v[85:86], v[16:17], s[14:15], v[85:86]
	v_lshlrev_b64 v[18:19], 4, v[18:19]
	v_lshlrev_b64 v[54:55], 4, v[54:55]
	;; [unrolled: 1-line block ×3, first 2 shown]
	v_add_f64 v[30:31], v[4:5], v[30:31]
	v_fma_f64 v[89:90], v[77:78], s[18:19], v[89:90]
	v_fma_f64 v[34:35], v[38:39], s[20:21], v[34:35]
	;; [unrolled: 1-line block ×4, first 2 shown]
	v_add_f64 v[46:47], v[6:7], v[46:47]
	v_fma_f64 v[50:51], v[58:59], s[16:17], v[64:65]
	v_lshlrev_b64 v[64:65], 4, v[14:15]
	v_fma_f64 v[83:84], v[62:63], s[18:19], v[83:84]
	v_fma_f64 v[20:21], v[0:1], s[0:1], v[20:21]
	v_fma_f64 v[24:25], v[0:1], s[4:5], v[24:25]
	v_fma_f64 v[0:1], v[0:1], s[0:1], v[85:86]
	v_add_f64 v[85:86], v[66:67], v[38:39]
	v_fma_f64 v[89:90], v[10:11], -0.5, v[89:90]
	v_fma_f64 v[81:82], v[10:11], -0.5, v[81:82]
	v_add_f64 v[6:7], v[34:35], v[50:51]
	v_fma_f64 v[10:11], v[10:11], -0.5, v[83:84]
	v_add_f64 v[83:84], v[12:13], v[8:9]
	v_fma_f64 v[38:39], v[8:9], s[20:21], v[20:21]
	v_add_f64 v[85:86], v[85:86], -v[32:33]
	v_fma_f64 v[32:33], v[32:33], s[20:21], v[36:37]
	v_fma_f64 v[36:37], v[2:3], s[16:17], v[68:69]
	;; [unrolled: 1-line block ×5, first 2 shown]
	v_lshlrev_b64 v[62:63], 4, v[74:75]
	v_add_f64 v[83:84], v[83:84], -v[16:17]
	v_fma_f64 v[16:17], v[72:73], s[16:17], v[42:43]
	v_fma_f64 v[42:43], v[12:13], s[20:21], v[0:1]
	;; [unrolled: 1-line block ×3, first 2 shown]
	v_mul_f64 v[20:21], v[85:86], s[0:1]
	v_fma_f64 v[2:3], v[85:86], s[0:1], v[52:53]
	v_add_f64 v[10:11], v[32:33], v[36:37]
	v_add_co_u32 v36, vcc_lo, v93, v70
	v_add_co_ci_u32_e32 v37, vcc_lo, v94, v71, vcc_lo
	v_add_f64 v[4:5], v[58:59], -v[38:39]
	v_add_co_u32 v50, vcc_lo, v93, v22
	v_add_co_ci_u32_e32 v51, vcc_lo, v94, v23, vcc_lo
	v_add_f64 v[8:9], v[8:9], -v[60:61]
	v_add_co_u32 v52, vcc_lo, v93, v18
	v_add_co_ci_u32_e32 v53, vcc_lo, v94, v19, vcc_lo
	v_mul_f64 v[24:25], v[83:84], s[0:1]
	v_fma_f64 v[0:1], v[83:84], s[4:5], v[87:88]
	v_add_f64 v[14:15], v[48:49], v[16:17]
	v_add_f64 v[12:13], v[12:13], -v[42:43]
	v_add_f64 v[18:19], v[28:29], v[30:31]
	v_add_f64 v[16:17], v[26:27], v[46:47]
	v_fma_f64 v[22:23], v[20:21], -2.0, v[2:3]
	v_fma_f64 v[26:27], v[34:35], -2.0, v[6:7]
	;; [unrolled: 1-line block ×3, first 2 shown]
	v_fma_f64 v[28:29], v[60:61], 2.0, v[8:9]
	v_fma_f64 v[20:21], v[24:25], 2.0, v[0:1]
	;; [unrolled: 1-line block ×3, first 2 shown]
	v_fma_f64 v[34:35], v[48:49], -2.0, v[14:15]
	v_fma_f64 v[32:33], v[42:43], 2.0, v[12:13]
	v_add_co_u32 v38, vcc_lo, v93, v54
	v_add_co_ci_u32_e32 v39, vcc_lo, v94, v55, vcc_lo
	v_add_co_u32 v42, vcc_lo, v93, v56
	v_add_co_ci_u32_e32 v43, vcc_lo, v94, v57, vcc_lo
	v_add_co_u32 v46, vcc_lo, v93, v62
	v_add_co_ci_u32_e32 v47, vcc_lo, v94, v63, vcc_lo
	v_add_co_u32 v48, vcc_lo, v93, v64
	v_add_co_ci_u32_e32 v49, vcc_lo, v94, v65, vcc_lo
	global_store_dwordx4 v[44:45], v[16:19], off
	global_store_dwordx4 v[40:41], v[12:15], off
	;; [unrolled: 1-line block ×9, first 2 shown]
.LBB0_6:
	s_endpgm
	.section	.rodata,"a",@progbits
	.p2align	6, 0x0
	.amdhsa_kernel fft_rtc_back_len243_factors_9_3_9_wgs_189_tpt_27_dim1_dp_ip_CI_sbrr_dirReg
		.amdhsa_group_segment_fixed_size 0
		.amdhsa_private_segment_fixed_size 0
		.amdhsa_kernarg_size 80
		.amdhsa_user_sgpr_count 6
		.amdhsa_user_sgpr_private_segment_buffer 1
		.amdhsa_user_sgpr_dispatch_ptr 0
		.amdhsa_user_sgpr_queue_ptr 0
		.amdhsa_user_sgpr_kernarg_segment_ptr 1
		.amdhsa_user_sgpr_dispatch_id 0
		.amdhsa_user_sgpr_flat_scratch_init 0
		.amdhsa_user_sgpr_private_segment_size 0
		.amdhsa_wavefront_size32 1
		.amdhsa_uses_dynamic_stack 0
		.amdhsa_system_sgpr_private_segment_wavefront_offset 0
		.amdhsa_system_sgpr_workgroup_id_x 1
		.amdhsa_system_sgpr_workgroup_id_y 0
		.amdhsa_system_sgpr_workgroup_id_z 0
		.amdhsa_system_sgpr_workgroup_info 0
		.amdhsa_system_vgpr_workitem_id 0
		.amdhsa_next_free_vgpr 95
		.amdhsa_next_free_sgpr 28
		.amdhsa_reserve_vcc 1
		.amdhsa_reserve_flat_scratch 0
		.amdhsa_float_round_mode_32 0
		.amdhsa_float_round_mode_16_64 0
		.amdhsa_float_denorm_mode_32 3
		.amdhsa_float_denorm_mode_16_64 3
		.amdhsa_dx10_clamp 1
		.amdhsa_ieee_mode 1
		.amdhsa_fp16_overflow 0
		.amdhsa_workgroup_processor_mode 1
		.amdhsa_memory_ordered 1
		.amdhsa_forward_progress 0
		.amdhsa_shared_vgpr_count 0
		.amdhsa_exception_fp_ieee_invalid_op 0
		.amdhsa_exception_fp_denorm_src 0
		.amdhsa_exception_fp_ieee_div_zero 0
		.amdhsa_exception_fp_ieee_overflow 0
		.amdhsa_exception_fp_ieee_underflow 0
		.amdhsa_exception_fp_ieee_inexact 0
		.amdhsa_exception_int_div_zero 0
	.end_amdhsa_kernel
	.text
.Lfunc_end0:
	.size	fft_rtc_back_len243_factors_9_3_9_wgs_189_tpt_27_dim1_dp_ip_CI_sbrr_dirReg, .Lfunc_end0-fft_rtc_back_len243_factors_9_3_9_wgs_189_tpt_27_dim1_dp_ip_CI_sbrr_dirReg
                                        ; -- End function
	.section	.AMDGPU.csdata,"",@progbits
; Kernel info:
; codeLenInByte = 4732
; NumSgprs: 30
; NumVgprs: 95
; ScratchSize: 0
; MemoryBound: 1
; FloatMode: 240
; IeeeMode: 1
; LDSByteSize: 0 bytes/workgroup (compile time only)
; SGPRBlocks: 3
; VGPRBlocks: 11
; NumSGPRsForWavesPerEU: 30
; NumVGPRsForWavesPerEU: 95
; Occupancy: 10
; WaveLimiterHint : 1
; COMPUTE_PGM_RSRC2:SCRATCH_EN: 0
; COMPUTE_PGM_RSRC2:USER_SGPR: 6
; COMPUTE_PGM_RSRC2:TRAP_HANDLER: 0
; COMPUTE_PGM_RSRC2:TGID_X_EN: 1
; COMPUTE_PGM_RSRC2:TGID_Y_EN: 0
; COMPUTE_PGM_RSRC2:TGID_Z_EN: 0
; COMPUTE_PGM_RSRC2:TIDIG_COMP_CNT: 0
	.text
	.p2alignl 6, 3214868480
	.fill 48, 4, 3214868480
	.type	__hip_cuid_a230d43ac3dbf56a,@object ; @__hip_cuid_a230d43ac3dbf56a
	.section	.bss,"aw",@nobits
	.globl	__hip_cuid_a230d43ac3dbf56a
__hip_cuid_a230d43ac3dbf56a:
	.byte	0                               ; 0x0
	.size	__hip_cuid_a230d43ac3dbf56a, 1

	.ident	"AMD clang version 19.0.0git (https://github.com/RadeonOpenCompute/llvm-project roc-6.4.0 25133 c7fe45cf4b819c5991fe208aaa96edf142730f1d)"
	.section	".note.GNU-stack","",@progbits
	.addrsig
	.addrsig_sym __hip_cuid_a230d43ac3dbf56a
	.amdgpu_metadata
---
amdhsa.kernels:
  - .args:
      - .actual_access:  read_only
        .address_space:  global
        .offset:         0
        .size:           8
        .value_kind:     global_buffer
      - .actual_access:  read_only
        .address_space:  global
        .offset:         8
        .size:           8
        .value_kind:     global_buffer
      - .actual_access:  read_only
        .address_space:  global
        .offset:         16
        .size:           8
        .value_kind:     global_buffer
      - .offset:         24
        .size:           8
        .value_kind:     by_value
      - .actual_access:  read_only
        .address_space:  global
        .offset:         32
        .size:           8
        .value_kind:     global_buffer
      - .actual_access:  read_only
        .address_space:  global
        .offset:         40
        .size:           8
        .value_kind:     global_buffer
      - .offset:         48
        .size:           4
        .value_kind:     by_value
      - .actual_access:  read_only
        .address_space:  global
        .offset:         56
        .size:           8
        .value_kind:     global_buffer
      - .actual_access:  read_only
        .address_space:  global
        .offset:         64
        .size:           8
        .value_kind:     global_buffer
      - .address_space:  global
        .offset:         72
        .size:           8
        .value_kind:     global_buffer
    .group_segment_fixed_size: 0
    .kernarg_segment_align: 8
    .kernarg_segment_size: 80
    .language:       OpenCL C
    .language_version:
      - 2
      - 0
    .max_flat_workgroup_size: 189
    .name:           fft_rtc_back_len243_factors_9_3_9_wgs_189_tpt_27_dim1_dp_ip_CI_sbrr_dirReg
    .private_segment_fixed_size: 0
    .sgpr_count:     30
    .sgpr_spill_count: 0
    .symbol:         fft_rtc_back_len243_factors_9_3_9_wgs_189_tpt_27_dim1_dp_ip_CI_sbrr_dirReg.kd
    .uniform_work_group_size: 1
    .uses_dynamic_stack: false
    .vgpr_count:     95
    .vgpr_spill_count: 0
    .wavefront_size: 32
    .workgroup_processor_mode: 1
amdhsa.target:   amdgcn-amd-amdhsa--gfx1030
amdhsa.version:
  - 1
  - 2
...

	.end_amdgpu_metadata
